;; amdgpu-corpus repo=ROCm/rocFFT kind=compiled arch=gfx906 opt=O3
	.text
	.amdgcn_target "amdgcn-amd-amdhsa--gfx906"
	.amdhsa_code_object_version 6
	.protected	fft_rtc_fwd_len416_factors_13_2_16_wgs_64_tpt_32_sp_op_CI_CI_sbrr_dirReg ; -- Begin function fft_rtc_fwd_len416_factors_13_2_16_wgs_64_tpt_32_sp_op_CI_CI_sbrr_dirReg
	.globl	fft_rtc_fwd_len416_factors_13_2_16_wgs_64_tpt_32_sp_op_CI_CI_sbrr_dirReg
	.p2align	8
	.type	fft_rtc_fwd_len416_factors_13_2_16_wgs_64_tpt_32_sp_op_CI_CI_sbrr_dirReg,@function
fft_rtc_fwd_len416_factors_13_2_16_wgs_64_tpt_32_sp_op_CI_CI_sbrr_dirReg: ; @fft_rtc_fwd_len416_factors_13_2_16_wgs_64_tpt_32_sp_op_CI_CI_sbrr_dirReg
; %bb.0:
	s_load_dwordx4 s[16:19], s[4:5], 0x18
	s_load_dwordx4 s[12:15], s[4:5], 0x0
	;; [unrolled: 1-line block ×3, first 2 shown]
	v_lshrrev_b32_e32 v1, 5, v0
	v_lshl_or_b32 v5, s6, 1, v1
	s_waitcnt lgkmcnt(0)
	s_load_dwordx2 s[22:23], s[16:17], 0x0
	s_load_dwordx2 s[20:21], s[18:19], 0x0
	v_cmp_lt_u64_e64 s[0:1], s[14:15], 2
	v_mov_b32_e32 v3, 0
	v_mov_b32_e32 v1, 0
	;; [unrolled: 1-line block ×3, first 2 shown]
	s_and_b64 vcc, exec, s[0:1]
	v_mov_b32_e32 v2, 0
	s_cbranch_vccnz .LBB0_8
; %bb.1:
	s_load_dwordx2 s[0:1], s[4:5], 0x10
	s_add_u32 s2, s18, 8
	s_addc_u32 s3, s19, 0
	s_add_u32 s6, s16, 8
	v_mov_b32_e32 v1, 0
	s_addc_u32 s7, s17, 0
	v_mov_b32_e32 v2, 0
	s_waitcnt lgkmcnt(0)
	s_add_u32 s24, s0, 8
	v_mov_b32_e32 v29, v2
	s_addc_u32 s25, s1, 0
	s_mov_b64 s[26:27], 1
	v_mov_b32_e32 v28, v1
.LBB0_2:                                ; =>This Inner Loop Header: Depth=1
	s_load_dwordx2 s[28:29], s[24:25], 0x0
                                        ; implicit-def: $vgpr30_vgpr31
	s_waitcnt lgkmcnt(0)
	v_or_b32_e32 v4, s29, v6
	v_cmp_ne_u64_e32 vcc, 0, v[3:4]
	s_and_saveexec_b64 s[0:1], vcc
	s_xor_b64 s[30:31], exec, s[0:1]
	s_cbranch_execz .LBB0_4
; %bb.3:                                ;   in Loop: Header=BB0_2 Depth=1
	v_cvt_f32_u32_e32 v4, s28
	v_cvt_f32_u32_e32 v7, s29
	s_sub_u32 s0, 0, s28
	s_subb_u32 s1, 0, s29
	v_mac_f32_e32 v4, 0x4f800000, v7
	v_rcp_f32_e32 v4, v4
	v_mul_f32_e32 v4, 0x5f7ffffc, v4
	v_mul_f32_e32 v7, 0x2f800000, v4
	v_trunc_f32_e32 v7, v7
	v_mac_f32_e32 v4, 0xcf800000, v7
	v_cvt_u32_f32_e32 v7, v7
	v_cvt_u32_f32_e32 v4, v4
	v_mul_lo_u32 v8, s0, v7
	v_mul_hi_u32 v9, s0, v4
	v_mul_lo_u32 v11, s1, v4
	v_mul_lo_u32 v10, s0, v4
	v_add_u32_e32 v8, v9, v8
	v_add_u32_e32 v8, v8, v11
	v_mul_hi_u32 v9, v4, v10
	v_mul_lo_u32 v11, v4, v8
	v_mul_hi_u32 v13, v4, v8
	v_mul_hi_u32 v12, v7, v10
	v_mul_lo_u32 v10, v7, v10
	v_mul_hi_u32 v14, v7, v8
	v_add_co_u32_e32 v9, vcc, v9, v11
	v_addc_co_u32_e32 v11, vcc, 0, v13, vcc
	v_mul_lo_u32 v8, v7, v8
	v_add_co_u32_e32 v9, vcc, v9, v10
	v_addc_co_u32_e32 v9, vcc, v11, v12, vcc
	v_addc_co_u32_e32 v10, vcc, 0, v14, vcc
	v_add_co_u32_e32 v8, vcc, v9, v8
	v_addc_co_u32_e32 v9, vcc, 0, v10, vcc
	v_add_co_u32_e32 v4, vcc, v4, v8
	v_addc_co_u32_e32 v7, vcc, v7, v9, vcc
	v_mul_lo_u32 v8, s0, v7
	v_mul_hi_u32 v9, s0, v4
	v_mul_lo_u32 v10, s1, v4
	v_mul_lo_u32 v11, s0, v4
	v_add_u32_e32 v8, v9, v8
	v_add_u32_e32 v8, v8, v10
	v_mul_lo_u32 v12, v4, v8
	v_mul_hi_u32 v13, v4, v11
	v_mul_hi_u32 v14, v4, v8
	;; [unrolled: 1-line block ×3, first 2 shown]
	v_mul_lo_u32 v11, v7, v11
	v_mul_hi_u32 v9, v7, v8
	v_add_co_u32_e32 v12, vcc, v13, v12
	v_addc_co_u32_e32 v13, vcc, 0, v14, vcc
	v_mul_lo_u32 v8, v7, v8
	v_add_co_u32_e32 v11, vcc, v12, v11
	v_addc_co_u32_e32 v10, vcc, v13, v10, vcc
	v_addc_co_u32_e32 v9, vcc, 0, v9, vcc
	v_add_co_u32_e32 v8, vcc, v10, v8
	v_addc_co_u32_e32 v9, vcc, 0, v9, vcc
	v_add_co_u32_e32 v4, vcc, v4, v8
	v_addc_co_u32_e32 v9, vcc, v7, v9, vcc
	v_mad_u64_u32 v[7:8], s[0:1], v5, v9, 0
	v_mul_hi_u32 v10, v5, v4
	v_add_co_u32_e32 v11, vcc, v10, v7
	v_addc_co_u32_e32 v12, vcc, 0, v8, vcc
	v_mad_u64_u32 v[7:8], s[0:1], v6, v4, 0
	v_mad_u64_u32 v[9:10], s[0:1], v6, v9, 0
	v_add_co_u32_e32 v4, vcc, v11, v7
	v_addc_co_u32_e32 v4, vcc, v12, v8, vcc
	v_addc_co_u32_e32 v7, vcc, 0, v10, vcc
	v_add_co_u32_e32 v4, vcc, v4, v9
	v_addc_co_u32_e32 v9, vcc, 0, v7, vcc
	v_mul_lo_u32 v10, s29, v4
	v_mul_lo_u32 v11, s28, v9
	v_mad_u64_u32 v[7:8], s[0:1], s28, v4, 0
	v_add3_u32 v8, v8, v11, v10
	v_sub_u32_e32 v10, v6, v8
	v_mov_b32_e32 v11, s29
	v_sub_co_u32_e32 v7, vcc, v5, v7
	v_subb_co_u32_e64 v10, s[0:1], v10, v11, vcc
	v_subrev_co_u32_e64 v11, s[0:1], s28, v7
	v_subbrev_co_u32_e64 v10, s[0:1], 0, v10, s[0:1]
	v_cmp_le_u32_e64 s[0:1], s29, v10
	v_cndmask_b32_e64 v12, 0, -1, s[0:1]
	v_cmp_le_u32_e64 s[0:1], s28, v11
	v_cndmask_b32_e64 v11, 0, -1, s[0:1]
	v_cmp_eq_u32_e64 s[0:1], s29, v10
	v_cndmask_b32_e64 v10, v12, v11, s[0:1]
	v_add_co_u32_e64 v11, s[0:1], 2, v4
	v_addc_co_u32_e64 v12, s[0:1], 0, v9, s[0:1]
	v_add_co_u32_e64 v13, s[0:1], 1, v4
	v_addc_co_u32_e64 v14, s[0:1], 0, v9, s[0:1]
	v_subb_co_u32_e32 v8, vcc, v6, v8, vcc
	v_cmp_ne_u32_e64 s[0:1], 0, v10
	v_cmp_le_u32_e32 vcc, s29, v8
	v_cndmask_b32_e64 v10, v14, v12, s[0:1]
	v_cndmask_b32_e64 v12, 0, -1, vcc
	v_cmp_le_u32_e32 vcc, s28, v7
	v_cndmask_b32_e64 v7, 0, -1, vcc
	v_cmp_eq_u32_e32 vcc, s29, v8
	v_cndmask_b32_e32 v7, v12, v7, vcc
	v_cmp_ne_u32_e32 vcc, 0, v7
	v_cndmask_b32_e64 v7, v13, v11, s[0:1]
	v_cndmask_b32_e32 v31, v9, v10, vcc
	v_cndmask_b32_e32 v30, v4, v7, vcc
.LBB0_4:                                ;   in Loop: Header=BB0_2 Depth=1
	s_andn2_saveexec_b64 s[0:1], s[30:31]
	s_cbranch_execz .LBB0_6
; %bb.5:                                ;   in Loop: Header=BB0_2 Depth=1
	v_cvt_f32_u32_e32 v4, s28
	s_sub_i32 s30, 0, s28
	v_mov_b32_e32 v31, v3
	v_rcp_iflag_f32_e32 v4, v4
	v_mul_f32_e32 v4, 0x4f7ffffe, v4
	v_cvt_u32_f32_e32 v4, v4
	v_mul_lo_u32 v7, s30, v4
	v_mul_hi_u32 v7, v4, v7
	v_add_u32_e32 v4, v4, v7
	v_mul_hi_u32 v4, v5, v4
	v_mul_lo_u32 v7, v4, s28
	v_add_u32_e32 v8, 1, v4
	v_sub_u32_e32 v7, v5, v7
	v_subrev_u32_e32 v9, s28, v7
	v_cmp_le_u32_e32 vcc, s28, v7
	v_cndmask_b32_e32 v7, v7, v9, vcc
	v_cndmask_b32_e32 v4, v4, v8, vcc
	v_add_u32_e32 v8, 1, v4
	v_cmp_le_u32_e32 vcc, s28, v7
	v_cndmask_b32_e32 v30, v4, v8, vcc
.LBB0_6:                                ;   in Loop: Header=BB0_2 Depth=1
	s_or_b64 exec, exec, s[0:1]
	v_mul_lo_u32 v4, v31, s28
	v_mul_lo_u32 v9, v30, s29
	v_mad_u64_u32 v[7:8], s[0:1], v30, s28, 0
	s_load_dwordx2 s[0:1], s[6:7], 0x0
	s_load_dwordx2 s[28:29], s[2:3], 0x0
	v_add3_u32 v4, v8, v9, v4
	v_sub_co_u32_e32 v5, vcc, v5, v7
	v_subb_co_u32_e32 v4, vcc, v6, v4, vcc
	s_waitcnt lgkmcnt(0)
	v_mul_lo_u32 v6, s0, v4
	v_mul_lo_u32 v7, s1, v5
	v_mad_u64_u32 v[1:2], s[0:1], s0, v5, v[1:2]
	v_mul_lo_u32 v4, s28, v4
	v_mul_lo_u32 v8, s29, v5
	v_mad_u64_u32 v[28:29], s[0:1], s28, v5, v[28:29]
	s_add_u32 s26, s26, 1
	s_addc_u32 s27, s27, 0
	s_add_u32 s2, s2, 8
	v_add3_u32 v29, v8, v29, v4
	s_addc_u32 s3, s3, 0
	v_mov_b32_e32 v4, s14
	s_add_u32 s6, s6, 8
	v_mov_b32_e32 v5, s15
	s_addc_u32 s7, s7, 0
	v_cmp_ge_u64_e32 vcc, s[26:27], v[4:5]
	s_add_u32 s24, s24, 8
	v_add3_u32 v2, v7, v2, v6
	s_addc_u32 s25, s25, 0
	s_cbranch_vccnz .LBB0_9
; %bb.7:                                ;   in Loop: Header=BB0_2 Depth=1
	v_mov_b32_e32 v5, v30
	v_mov_b32_e32 v6, v31
	s_branch .LBB0_2
.LBB0_8:
	v_mov_b32_e32 v29, v2
	v_mov_b32_e32 v31, v6
	;; [unrolled: 1-line block ×4, first 2 shown]
.LBB0_9:
	s_load_dwordx2 s[0:1], s[4:5], 0x28
	s_lshl_b64 s[6:7], s[14:15], 3
	s_add_u32 s2, s18, s6
	s_addc_u32 s3, s19, s7
	v_and_b32_e32 v36, 31, v0
	s_waitcnt lgkmcnt(0)
	v_cmp_gt_u64_e32 vcc, s[0:1], v[30:31]
	v_cmp_le_u64_e64 s[0:1], s[0:1], v[30:31]
                                        ; implicit-def: $sgpr14_sgpr15
                                        ; implicit-def: $vgpr40
                                        ; implicit-def: $vgpr39
                                        ; implicit-def: $vgpr38
                                        ; implicit-def: $vgpr35
                                        ; implicit-def: $vgpr37
                                        ; implicit-def: $vgpr34
	s_and_saveexec_b64 s[4:5], s[0:1]
	s_xor_b64 s[0:1], exec, s[4:5]
; %bb.10:
	v_and_b32_e32 v36, 31, v0
	v_or_b32_e32 v40, 32, v36
	v_or_b32_e32 v39, 64, v36
	;; [unrolled: 1-line block ×6, first 2 shown]
	s_mov_b64 s[14:15], 0
                                        ; implicit-def: $vgpr1_vgpr2
; %bb.11:
	s_or_saveexec_b64 s[4:5], s[0:1]
	v_mov_b32_e32 v11, s14
	v_mov_b32_e32 v12, s15
                                        ; implicit-def: $vgpr26
                                        ; implicit-def: $vgpr22
                                        ; implicit-def: $vgpr18
                                        ; implicit-def: $vgpr14
                                        ; implicit-def: $vgpr8
                                        ; implicit-def: $vgpr4
                                        ; implicit-def: $vgpr6
                                        ; implicit-def: $vgpr10
                                        ; implicit-def: $vgpr16
                                        ; implicit-def: $vgpr20
                                        ; implicit-def: $vgpr24
                                        ; implicit-def: $vgpr33
	s_xor_b64 exec, exec, s[4:5]
	s_cbranch_execz .LBB0_13
; %bb.12:
	s_add_u32 s0, s16, s6
	s_addc_u32 s1, s17, s7
	s_load_dwordx2 s[0:1], s[0:1], 0x0
	v_mad_u64_u32 v[3:4], s[6:7], s22, v36, 0
	v_or_b32_e32 v40, 32, v36
	v_lshlrev_b64 v[1:2], 3, v[1:2]
	s_waitcnt lgkmcnt(0)
	v_mul_lo_u32 v9, s1, v30
	v_mul_lo_u32 v10, s0, v31
	v_mad_u64_u32 v[5:6], s[0:1], s0, v30, 0
	v_or_b32_e32 v39, 64, v36
	v_or_b32_e32 v38, 0x60, v36
	v_mad_u64_u32 v[7:8], s[0:1], s23, v36, v[4:5]
	v_add3_u32 v6, v6, v10, v9
	v_lshlrev_b64 v[5:6], 3, v[5:6]
	v_mov_b32_e32 v4, v7
	v_mov_b32_e32 v7, s9
	v_add_co_u32_e64 v8, s[0:1], s8, v5
	v_addc_co_u32_e64 v7, s[0:1], v7, v6, s[0:1]
	v_mad_u64_u32 v[5:6], s[0:1], s22, v40, 0
	v_add_co_u32_e64 v11, s[0:1], v8, v1
	v_addc_co_u32_e64 v12, s[0:1], v7, v2, s[0:1]
	v_lshlrev_b64 v[1:2], 3, v[3:4]
	v_mov_b32_e32 v3, v6
	v_mad_u64_u32 v[3:4], s[0:1], s23, v40, v[3:4]
	v_mad_u64_u32 v[7:8], s[0:1], s22, v39, 0
	v_mov_b32_e32 v6, v3
	v_add_co_u32_e64 v1, s[0:1], v11, v1
	v_lshlrev_b64 v[3:4], 3, v[5:6]
	v_mov_b32_e32 v5, v8
	v_addc_co_u32_e64 v2, s[0:1], v12, v2, s[0:1]
	v_mad_u64_u32 v[5:6], s[0:1], s23, v39, v[5:6]
	v_mad_u64_u32 v[9:10], s[0:1], s22, v38, 0
	v_add_co_u32_e64 v41, s[0:1], v11, v3
	v_mov_b32_e32 v8, v5
	v_mov_b32_e32 v5, v10
	v_addc_co_u32_e64 v42, s[0:1], v12, v4, s[0:1]
	v_mad_u64_u32 v[5:6], s[0:1], s23, v38, v[5:6]
	v_or_b32_e32 v35, 0x80, v36
	v_lshlrev_b64 v[3:4], 3, v[7:8]
	v_mad_u64_u32 v[6:7], s[0:1], s22, v35, 0
	v_add_co_u32_e64 v43, s[0:1], v11, v3
	v_mov_b32_e32 v10, v5
	v_mov_b32_e32 v5, v7
	v_addc_co_u32_e64 v44, s[0:1], v12, v4, s[0:1]
	v_mad_u64_u32 v[7:8], s[0:1], s23, v35, v[5:6]
	v_or_b32_e32 v37, 0xa0, v36
	v_lshlrev_b64 v[3:4], 3, v[9:10]
	v_mad_u64_u32 v[8:9], s[0:1], s22, v37, 0
	v_add_co_u32_e64 v45, s[0:1], v11, v3
	v_mov_b32_e32 v5, v9
	v_addc_co_u32_e64 v46, s[0:1], v12, v4, s[0:1]
	v_lshlrev_b64 v[3:4], 3, v[6:7]
	v_mad_u64_u32 v[5:6], s[0:1], s23, v37, v[5:6]
	v_or_b32_e32 v34, 0xc0, v36
	v_mad_u64_u32 v[6:7], s[0:1], s22, v34, 0
	v_add_co_u32_e64 v47, s[0:1], v11, v3
	v_mov_b32_e32 v9, v5
	v_mov_b32_e32 v5, v7
	v_addc_co_u32_e64 v48, s[0:1], v12, v4, s[0:1]
	v_lshlrev_b64 v[3:4], 3, v[8:9]
	v_mad_u64_u32 v[7:8], s[0:1], s23, v34, v[5:6]
	v_or_b32_e32 v10, 0xe0, v36
	v_mad_u64_u32 v[8:9], s[0:1], s22, v10, 0
	v_add_co_u32_e64 v49, s[0:1], v11, v3
	v_mov_b32_e32 v5, v9
	v_addc_co_u32_e64 v50, s[0:1], v12, v4, s[0:1]
	v_lshlrev_b64 v[3:4], 3, v[6:7]
	v_mad_u64_u32 v[5:6], s[0:1], s23, v10, v[5:6]
	v_or_b32_e32 v10, 0x100, v36
	v_mad_u64_u32 v[6:7], s[0:1], s22, v10, 0
	v_add_co_u32_e64 v51, s[0:1], v11, v3
	v_mov_b32_e32 v9, v5
	v_mov_b32_e32 v5, v7
	v_addc_co_u32_e64 v52, s[0:1], v12, v4, s[0:1]
	v_lshlrev_b64 v[3:4], 3, v[8:9]
	v_mad_u64_u32 v[7:8], s[0:1], s23, v10, v[5:6]
	v_or_b32_e32 v10, 0x120, v36
	;; [unrolled: 15-line block ×3, first 2 shown]
	v_mad_u64_u32 v[8:9], s[0:1], s22, v10, 0
	v_add_co_u32_e64 v57, s[0:1], v11, v3
	v_mov_b32_e32 v5, v9
	v_addc_co_u32_e64 v58, s[0:1], v12, v4, s[0:1]
	v_lshlrev_b64 v[3:4], 3, v[6:7]
	v_mad_u64_u32 v[5:6], s[0:1], s23, v10, v[5:6]
	v_or_b32_e32 v10, 0x180, v36
	v_mad_u64_u32 v[6:7], s[0:1], s22, v10, 0
	v_add_co_u32_e64 v59, s[0:1], v11, v3
	v_mov_b32_e32 v9, v5
	v_mov_b32_e32 v5, v7
	v_addc_co_u32_e64 v60, s[0:1], v12, v4, s[0:1]
	v_lshlrev_b64 v[3:4], 3, v[8:9]
	v_mad_u64_u32 v[7:8], s[0:1], s23, v10, v[5:6]
	v_add_co_u32_e64 v61, s[0:1], v11, v3
	v_addc_co_u32_e64 v62, s[0:1], v12, v4, s[0:1]
	v_lshlrev_b64 v[3:4], 3, v[6:7]
	v_add_co_u32_e64 v63, s[0:1], v11, v3
	v_addc_co_u32_e64 v64, s[0:1], v12, v4, s[0:1]
	global_load_dwordx2 v[11:12], v[1:2], off
	global_load_dwordx2 v[25:26], v[41:42], off
	;; [unrolled: 1-line block ×13, first 2 shown]
.LBB0_13:
	s_or_b64 exec, exec, s[4:5]
	s_waitcnt vmcnt(11)
	v_add_f32_e32 v1, v25, v11
	v_add_f32_e32 v2, v26, v12
	s_waitcnt vmcnt(10)
	v_add_f32_e32 v1, v21, v1
	v_add_f32_e32 v2, v22, v2
	;; [unrolled: 3-line block ×10, first 2 shown]
	s_waitcnt vmcnt(1)
	v_add_f32_e32 v1, v23, v1
	s_waitcnt vmcnt(0)
	v_add_f32_e32 v27, v25, v32
	v_add_f32_e32 v2, v24, v2
	;; [unrolled: 1-line block ×3, first 2 shown]
	v_sub_f32_e32 v25, v25, v32
	v_mul_f32_e32 v32, 0x3f62ad3f, v27
	v_mul_f32_e32 v42, 0x3f116cb1, v27
	;; [unrolled: 1-line block ×3, first 2 shown]
	v_add_f32_e32 v46, v21, v23
	v_sub_f32_e32 v21, v21, v23
	v_add_f32_e32 v23, v17, v19
	v_sub_f32_e32 v17, v17, v19
	;; [unrolled: 2-line block ×3, first 2 shown]
	v_mul_f32_e32 v15, 0xbeb58ec6, v27
	v_mul_f32_e32 v48, 0xbf3f9e67, v27
	v_mul_f32_e32 v27, 0xbf788fa5, v27
	v_add_f32_e32 v2, v33, v2
	v_add_f32_e32 v41, v26, v33
	v_sub_f32_e32 v26, v26, v33
	v_mov_b32_e32 v33, v32
	v_mov_b32_e32 v43, v42
	;; [unrolled: 1-line block ×3, first 2 shown]
	v_add_f32_e32 v47, v22, v24
	v_sub_f32_e32 v22, v22, v24
	v_add_f32_e32 v24, v18, v20
	v_sub_f32_e32 v18, v18, v20
	;; [unrolled: 2-line block ×3, first 2 shown]
	v_mov_b32_e32 v16, v15
	v_mov_b32_e32 v49, v48
	;; [unrolled: 1-line block ×3, first 2 shown]
	v_fmac_f32_e32 v33, 0x3eedf032, v26
	v_fmac_f32_e32 v32, 0xbeedf032, v26
	v_fmac_f32_e32 v43, 0x3f52af12, v26
	v_fmac_f32_e32 v42, 0xbf52af12, v26
	v_fmac_f32_e32 v45, 0x3f7e222b, v26
	v_fmac_f32_e32 v44, 0xbf7e222b, v26
	v_fmac_f32_e32 v16, 0x3f6f5d39, v26
	v_fmac_f32_e32 v15, 0xbf6f5d39, v26
	v_fmac_f32_e32 v49, 0x3f29c268, v26
	v_fmac_f32_e32 v48, 0xbf29c268, v26
	v_fmac_f32_e32 v50, 0x3e750f2a, v26
	v_fmac_f32_e32 v27, 0xbe750f2a, v26
	v_mul_f32_e32 v26, 0xbeedf032, v25
	v_mul_f32_e32 v52, 0xbf52af12, v25
	;; [unrolled: 1-line block ×6, first 2 shown]
	s_mov_b32 s14, 0x3f62ad3f
	v_mov_b32_e32 v51, v26
	s_mov_b32 s8, 0x3f116cb1
	v_mov_b32_e32 v53, v52
	;; [unrolled: 2-line block ×6, first 2 shown]
	v_fmac_f32_e32 v51, 0x3f62ad3f, v41
	v_fma_f32 v26, v41, s14, -v26
	v_fmac_f32_e32 v53, 0x3f116cb1, v41
	v_fma_f32 v52, v41, s8, -v52
	;; [unrolled: 2-line block ×6, first 2 shown]
	v_add_f32_e32 v41, v51, v12
	v_add_f32_e32 v26, v26, v12
	;; [unrolled: 1-line block ×12, first 2 shown]
	v_mul_f32_e32 v25, 0x3f116cb1, v46
	v_add_f32_e32 v33, v33, v11
	v_add_f32_e32 v32, v32, v11
	;; [unrolled: 1-line block ×12, first 2 shown]
	v_mov_b32_e32 v27, v25
	v_fmac_f32_e32 v27, 0x3f52af12, v22
	v_add_f32_e32 v27, v27, v33
	v_mul_f32_e32 v33, 0xbf52af12, v21
	v_fmac_f32_e32 v25, 0xbf52af12, v22
	v_add_f32_e32 v25, v25, v32
	v_fma_f32 v32, v47, s8, -v33
	v_add_f32_e32 v26, v32, v26
	v_mul_f32_e32 v32, 0xbeb58ec6, v46
	v_mov_b32_e32 v60, v33
	v_mov_b32_e32 v33, v32
	v_fmac_f32_e32 v33, 0x3f6f5d39, v22
	v_fmac_f32_e32 v60, 0x3f116cb1, v47
	v_add_f32_e32 v33, v33, v43
	v_mul_f32_e32 v43, 0xbf6f5d39, v21
	v_fmac_f32_e32 v32, 0xbf6f5d39, v22
	v_add_f32_e32 v41, v60, v41
	v_mov_b32_e32 v60, v43
	v_add_f32_e32 v32, v32, v42
	v_fma_f32 v42, v47, s7, -v43
	v_mul_f32_e32 v43, 0xbf788fa5, v46
	v_add_f32_e32 v42, v42, v52
	v_mov_b32_e32 v52, v43
	v_fmac_f32_e32 v52, 0x3e750f2a, v22
	v_fmac_f32_e32 v60, 0xbeb58ec6, v47
	v_add_f32_e32 v45, v52, v45
	v_mul_f32_e32 v52, 0xbe750f2a, v21
	v_fmac_f32_e32 v43, 0xbe750f2a, v22
	v_add_f32_e32 v51, v60, v51
	v_mov_b32_e32 v60, v52
	v_add_f32_e32 v43, v43, v44
	v_fma_f32 v44, v47, s15, -v52
	v_mul_f32_e32 v52, 0xbf3f9e67, v46
	v_add_f32_e32 v44, v44, v54
	;; [unrolled: 12-line block ×3, first 2 shown]
	v_mov_b32_e32 v56, v54
	v_fmac_f32_e32 v56, 0xbf7e222b, v22
	v_fmac_f32_e32 v60, 0xbf3f9e67, v47
	v_add_f32_e32 v49, v56, v49
	v_mul_f32_e32 v56, 0x3f7e222b, v21
	v_fmac_f32_e32 v54, 0x3f7e222b, v22
	v_mul_f32_e32 v46, 0x3f62ad3f, v46
	v_add_f32_e32 v55, v60, v55
	v_mov_b32_e32 v60, v56
	v_add_f32_e32 v48, v54, v48
	v_fma_f32 v54, v47, s6, -v56
	v_mov_b32_e32 v56, v46
	v_fmac_f32_e32 v56, 0xbeedf032, v22
	v_mul_f32_e32 v21, 0x3eedf032, v21
	v_add_f32_e32 v50, v56, v50
	v_mov_b32_e32 v56, v21
	v_fma_f32 v21, v47, s14, -v21
	v_add_f32_e32 v12, v21, v12
	v_mul_f32_e32 v21, 0x3df6dbef, v23
	v_fmac_f32_e32 v46, 0x3eedf032, v22
	v_mov_b32_e32 v22, v21
	v_fmac_f32_e32 v22, 0x3f7e222b, v18
	v_add_f32_e32 v22, v22, v27
	v_mul_f32_e32 v27, 0xbf7e222b, v17
	v_fmac_f32_e32 v21, 0xbf7e222b, v18
	v_add_f32_e32 v21, v21, v25
	v_fma_f32 v25, v24, s6, -v27
	v_add_f32_e32 v25, v25, v26
	v_mul_f32_e32 v26, 0xbf788fa5, v23
	v_add_f32_e32 v11, v46, v11
	v_mov_b32_e32 v46, v27
	v_mov_b32_e32 v27, v26
	v_fmac_f32_e32 v27, 0x3e750f2a, v18
	v_fmac_f32_e32 v46, 0x3df6dbef, v24
	v_add_f32_e32 v27, v27, v33
	v_mul_f32_e32 v33, 0xbe750f2a, v17
	v_fmac_f32_e32 v26, 0xbe750f2a, v18
	v_add_f32_e32 v41, v46, v41
	v_mov_b32_e32 v46, v33
	v_add_f32_e32 v26, v26, v32
	v_fma_f32 v32, v24, s15, -v33
	v_mul_f32_e32 v33, 0xbeb58ec6, v23
	v_add_f32_e32 v32, v32, v42
	v_mov_b32_e32 v42, v33
	v_fmac_f32_e32 v42, 0xbf6f5d39, v18
	v_add_f32_e32 v42, v42, v45
	v_mul_f32_e32 v45, 0x3f6f5d39, v17
	v_fmac_f32_e32 v33, 0x3f6f5d39, v18
	v_add_f32_e32 v33, v33, v43
	v_fma_f32 v43, v24, s7, -v45
	v_add_f32_e32 v43, v43, v44
	v_mul_f32_e32 v44, 0x3f62ad3f, v23
	v_fmac_f32_e32 v60, 0x3df6dbef, v47
	v_fmac_f32_e32 v56, 0x3f62ad3f, v47
	v_mov_b32_e32 v47, v45
	v_mov_b32_e32 v45, v44
	v_fmac_f32_e32 v45, 0xbeedf032, v18
	v_fmac_f32_e32 v46, 0xbf788fa5, v24
	v_add_f32_e32 v16, v45, v16
	v_mul_f32_e32 v45, 0x3eedf032, v17
	v_fmac_f32_e32 v44, 0x3eedf032, v18
	v_add_f32_e32 v46, v46, v51
	v_mov_b32_e32 v51, v45
	v_add_f32_e32 v15, v44, v15
	v_fma_f32 v44, v24, s14, -v45
	v_mul_f32_e32 v45, 0x3f116cb1, v23
	v_add_f32_e32 v44, v44, v52
	v_mov_b32_e32 v52, v45
	v_fmac_f32_e32 v52, 0x3f52af12, v18
	v_fmac_f32_e32 v47, 0xbeb58ec6, v24
	v_add_f32_e32 v49, v52, v49
	v_mul_f32_e32 v52, 0xbf52af12, v17
	v_fmac_f32_e32 v45, 0xbf52af12, v18
	v_mul_f32_e32 v23, 0xbf3f9e67, v23
	v_add_f32_e32 v47, v47, v53
	v_mov_b32_e32 v53, v52
	v_add_f32_e32 v45, v45, v48
	v_fma_f32 v48, v24, s8, -v52
	v_mov_b32_e32 v52, v23
	v_fmac_f32_e32 v52, 0x3f29c268, v18
	v_mul_f32_e32 v17, 0xbf29c268, v17
	v_add_f32_e32 v50, v52, v50
	v_mov_b32_e32 v52, v17
	v_fma_f32 v17, v24, s9, -v17
	v_add_f32_e32 v17, v17, v12
	v_mul_f32_e32 v12, 0xbeb58ec6, v19
	v_fmac_f32_e32 v23, 0xbf29c268, v18
	v_mov_b32_e32 v18, v12
	v_fmac_f32_e32 v18, 0x3f6f5d39, v14
	v_add_f32_e32 v18, v18, v22
	v_mul_f32_e32 v22, 0xbf6f5d39, v13
	v_fmac_f32_e32 v12, 0xbf6f5d39, v14
	v_add_f32_e32 v21, v12, v21
	v_fma_f32 v12, v20, s7, -v22
	v_add_f32_e32 v11, v23, v11
	v_mov_b32_e32 v23, v22
	v_add_f32_e32 v22, v12, v25
	v_mul_f32_e32 v12, 0xbf3f9e67, v19
	v_fmac_f32_e32 v51, 0x3f62ad3f, v24
	v_fmac_f32_e32 v53, 0x3f116cb1, v24
	v_fmac_f32_e32 v52, 0xbf3f9e67, v24
	v_mov_b32_e32 v24, v12
	v_mul_f32_e32 v25, 0x3f29c268, v13
	v_fmac_f32_e32 v12, 0x3f29c268, v14
	v_fmac_f32_e32 v24, 0xbf29c268, v14
	v_add_f32_e32 v26, v12, v26
	v_fma_f32 v12, v20, s9, -v25
	v_fmac_f32_e32 v23, 0xbeb58ec6, v20
	v_add_f32_e32 v24, v24, v27
	v_mov_b32_e32 v27, v25
	v_add_f32_e32 v25, v12, v32
	v_mul_f32_e32 v12, 0x3f62ad3f, v19
	v_add_f32_e32 v23, v23, v41
	v_mov_b32_e32 v32, v12
	v_mul_f32_e32 v41, 0x3eedf032, v13
	v_fmac_f32_e32 v12, 0x3eedf032, v14
	v_fmac_f32_e32 v32, 0xbeedf032, v14
	v_add_f32_e32 v33, v12, v33
	v_fma_f32 v12, v20, s14, -v41
	v_add_f32_e32 v32, v32, v42
	v_mov_b32_e32 v42, v41
	v_add_f32_e32 v41, v12, v43
	v_mul_f32_e32 v12, 0x3df6dbef, v19
	v_mov_b32_e32 v43, v12
	v_fmac_f32_e32 v43, 0x3f7e222b, v14
	v_add_f32_e32 v16, v43, v16
	v_mul_f32_e32 v43, 0xbf7e222b, v13
	v_fmac_f32_e32 v12, 0xbf7e222b, v14
	v_fmac_f32_e32 v27, 0xbf3f9e67, v20
	v_add_f32_e32 v15, v12, v15
	v_fma_f32 v12, v20, s6, -v43
	v_add_f32_e32 v27, v27, v46
	v_fmac_f32_e32 v42, 0x3f62ad3f, v20
	v_mov_b32_e32 v46, v43
	v_add_f32_e32 v43, v12, v44
	v_mul_f32_e32 v12, 0xbf788fa5, v19
	v_add_f32_e32 v54, v54, v58
	v_add_f32_e32 v42, v42, v47
	v_mov_b32_e32 v44, v12
	v_mul_f32_e32 v47, 0x3e750f2a, v13
	v_fmac_f32_e32 v12, 0x3e750f2a, v14
	v_add_f32_e32 v48, v48, v54
	v_fmac_f32_e32 v44, 0xbe750f2a, v14
	v_add_f32_e32 v45, v12, v45
	v_fma_f32 v12, v20, s15, -v47
	v_mul_f32_e32 v19, 0x3f116cb1, v19
	v_add_f32_e32 v44, v44, v49
	v_mov_b32_e32 v49, v47
	v_add_f32_e32 v47, v12, v48
	v_mov_b32_e32 v12, v19
	v_fmac_f32_e32 v12, 0xbf52af12, v14
	v_mul_f32_e32 v13, 0x3f52af12, v13
	v_fmac_f32_e32 v19, 0x3f52af12, v14
	v_and_b32_e32 v0, 32, v0
	v_add_f32_e32 v48, v12, v50
	v_mov_b32_e32 v12, v13
	v_cmp_ne_u32_e64 s[0:1], 0, v0
	v_add_f32_e32 v0, v19, v11
	v_fma_f32 v11, v20, s8, -v13
	v_add_f32_e32 v13, v7, v9
	v_sub_f32_e32 v7, v7, v9
	v_mul_f32_e32 v9, 0xbf3f9e67, v13
	v_add_f32_e32 v14, v8, v10
	v_sub_f32_e32 v8, v8, v10
	v_mov_b32_e32 v10, v9
	v_add_f32_e32 v11, v11, v17
	v_fmac_f32_e32 v10, 0x3f29c268, v8
	v_mul_f32_e32 v17, 0xbf29c268, v7
	v_fmac_f32_e32 v9, 0xbf29c268, v8
	v_add_f32_e32 v10, v10, v18
	v_mov_b32_e32 v18, v17
	v_add_f32_e32 v9, v9, v21
	v_fma_f32 v17, v14, s9, -v17
	v_mul_f32_e32 v19, 0x3df6dbef, v13
	v_mul_f32_e32 v21, 0x3f7e222b, v7
	v_fmac_f32_e32 v46, 0x3df6dbef, v20
	v_fmac_f32_e32 v49, 0xbf788fa5, v20
	;; [unrolled: 1-line block ×4, first 2 shown]
	v_add_f32_e32 v17, v17, v22
	v_mov_b32_e32 v20, v19
	v_mov_b32_e32 v22, v21
	v_fma_f32 v21, v14, s6, -v21
	v_add_f32_e32 v18, v18, v23
	v_fmac_f32_e32 v20, 0xbf7e222b, v8
	v_fmac_f32_e32 v19, 0x3f7e222b, v8
	v_add_f32_e32 v21, v21, v25
	v_mul_f32_e32 v23, 0x3f116cb1, v13
	v_mul_f32_e32 v25, 0xbf52af12, v7
	v_add_f32_e32 v20, v20, v24
	v_add_f32_e32 v19, v19, v26
	v_mov_b32_e32 v24, v23
	v_mov_b32_e32 v26, v25
	v_fmac_f32_e32 v24, 0x3f52af12, v8
	v_fmac_f32_e32 v26, 0x3f116cb1, v14
	v_fmac_f32_e32 v22, 0x3df6dbef, v14
	v_add_f32_e32 v24, v24, v32
	v_add_f32_e32 v32, v26, v42
	v_mul_f32_e32 v26, 0xbf788fa5, v13
	v_add_f32_e32 v22, v22, v27
	v_mov_b32_e32 v27, v26
	v_fmac_f32_e32 v27, 0xbe750f2a, v8
	v_fma_f32 v25, v14, s8, -v25
	v_add_f32_e32 v16, v27, v16
	v_mul_f32_e32 v27, 0x3e750f2a, v7
	v_fmac_f32_e32 v26, 0x3e750f2a, v8
	v_add_f32_e32 v25, v25, v41
	v_add_f32_e32 v41, v26, v15
	v_fma_f32 v15, v14, s15, -v27
	v_add_f32_e32 v42, v15, v43
	v_mul_f32_e32 v15, 0x3f62ad3f, v13
	v_mov_b32_e32 v26, v15
	v_fmac_f32_e32 v23, 0xbf52af12, v8
	v_fmac_f32_e32 v26, 0xbeedf032, v8
	v_add_f32_e32 v51, v51, v55
	v_add_f32_e32 v23, v23, v33
	v_mov_b32_e32 v33, v27
	v_add_f32_e32 v43, v26, v44
	v_mul_f32_e32 v26, 0x3eedf032, v7
	v_fmac_f32_e32 v15, 0x3eedf032, v8
	v_add_f32_e32 v57, v60, v57
	v_add_f32_e32 v46, v46, v51
	v_fmac_f32_e32 v33, 0xbf788fa5, v14
	v_add_f32_e32 v45, v15, v45
	v_fma_f32 v15, v14, s14, -v26
	v_mul_f32_e32 v13, 0xbeb58ec6, v13
	v_add_f32_e32 v53, v53, v57
	v_add_f32_e32 v33, v33, v46
	v_mov_b32_e32 v27, v26
	v_add_f32_e32 v46, v15, v47
	v_mov_b32_e32 v15, v13
	v_add_f32_e32 v56, v56, v59
	v_add_f32_e32 v49, v49, v53
	v_fmac_f32_e32 v27, 0x3f62ad3f, v14
	v_fmac_f32_e32 v15, 0x3f6f5d39, v8
	v_mul_f32_e32 v7, 0xbf6f5d39, v7
	v_add_f32_e32 v52, v52, v56
	v_add_f32_e32 v44, v27, v49
	;; [unrolled: 1-line block ×3, first 2 shown]
	v_mov_b32_e32 v15, v7
	v_add_f32_e32 v49, v3, v5
	v_add_f32_e32 v50, v12, v52
	v_fmac_f32_e32 v15, 0xbeb58ec6, v14
	v_sub_f32_e32 v51, v3, v5
	v_sub_f32_e32 v52, v4, v6
	v_mul_f32_e32 v5, 0xbf788fa5, v49
	v_add_f32_e32 v48, v15, v50
	v_add_f32_e32 v50, v4, v6
	v_mov_b32_e32 v3, v5
	v_mul_f32_e32 v6, 0xbe750f2a, v51
	v_fmac_f32_e32 v5, 0xbe750f2a, v52
	v_add_f32_e32 v26, v5, v9
	v_fma_f32 v5, v50, s15, -v6
	v_mov_b32_e32 v4, v6
	v_add_f32_e32 v27, v5, v17
	v_mul_f32_e32 v17, 0x3f116cb1, v49
	v_fmac_f32_e32 v4, 0xbf788fa5, v50
	v_mov_b32_e32 v15, v17
	v_fmac_f32_e32 v13, 0xbf6f5d39, v8
	v_fma_f32 v7, v14, s7, -v7
	v_add_f32_e32 v4, v4, v18
	v_mul_f32_e32 v14, 0xbf29c268, v51
	v_fmac_f32_e32 v15, 0xbf52af12, v52
	v_mul_f32_e32 v18, 0x3f52af12, v51
	v_add_f32_e32 v0, v13, v0
	v_add_f32_e32 v7, v7, v11
	v_fmac_f32_e32 v3, 0x3e750f2a, v52
	v_mul_f32_e32 v9, 0x3eedf032, v51
	v_mul_f32_e32 v13, 0xbf3f9e67, v49
	v_mov_b32_e32 v11, v14
	v_fma_f32 v14, v50, s9, -v14
	v_add_f32_e32 v15, v15, v16
	v_mov_b32_e32 v16, v18
	v_mov_b32_e32 v12, 0x1a0
	v_add_f32_e32 v3, v3, v10
	v_mul_f32_e32 v8, 0x3f62ad3f, v49
	v_mov_b32_e32 v6, v9
	v_mov_b32_e32 v10, v13
	v_fmac_f32_e32 v13, 0xbf29c268, v52
	v_add_f32_e32 v14, v14, v25
	v_fmac_f32_e32 v16, 0x3f116cb1, v50
	v_mul_f32_e32 v25, 0x3df6dbef, v49
	v_cndmask_b32_e64 v12, 0, v12, s[0:1]
	v_mov_b32_e32 v5, v8
	v_fmac_f32_e32 v6, 0x3f62ad3f, v50
	v_fma_f32 v9, v50, s14, -v9
	v_fmac_f32_e32 v11, 0xbf3f9e67, v50
	v_add_f32_e32 v13, v13, v23
	v_add_f32_e32 v16, v16, v33
	v_mov_b32_e32 v23, v25
	v_mul_f32_e32 v33, 0x3f7e222b, v51
	v_fmac_f32_e32 v25, 0x3f7e222b, v52
	v_fmac_f32_e32 v5, 0xbeedf032, v52
	v_add_f32_e32 v6, v6, v22
	v_fmac_f32_e32 v8, 0x3eedf032, v52
	v_add_f32_e32 v9, v9, v21
	;; [unrolled: 2-line block ×3, first 2 shown]
	v_mul_f32_e32 v21, 0xbeb58ec6, v49
	v_mul_f32_e32 v22, 0xbf6f5d39, v51
	v_add_f32_e32 v32, v25, v0
	v_fma_f32 v0, v50, s6, -v33
	v_lshl_add_u32 v25, v12, 3, 0
	s_movk_i32 s0, 0x68
	v_add_f32_e32 v5, v5, v20
	v_add_f32_e32 v8, v8, v19
	;; [unrolled: 1-line block ×3, first 2 shown]
	v_fmac_f32_e32 v17, 0x3f52af12, v52
	v_mov_b32_e32 v19, v21
	v_mov_b32_e32 v20, v22
	;; [unrolled: 1-line block ×3, first 2 shown]
	v_add_f32_e32 v33, v0, v7
	v_mad_u32_u24 v0, v36, s0, v25
	s_movk_i32 s0, 0xffa0
	v_add_f32_e32 v17, v17, v41
	v_fma_f32 v18, v50, s8, -v18
	v_fmac_f32_e32 v19, 0x3f6f5d39, v52
	v_fmac_f32_e32 v20, 0xbeb58ec6, v50
	;; [unrolled: 1-line block ×3, first 2 shown]
	v_fma_f32 v22, v50, s7, -v22
	v_fmac_f32_e32 v23, 0xbf7e222b, v52
	v_fmac_f32_e32 v24, 0x3df6dbef, v50
	v_mad_i32_i24 v41, v36, s0, v0
	s_load_dwordx2 s[4:5], s[2:3], 0x0
	v_add_f32_e32 v18, v18, v42
	v_add_f32_e32 v19, v19, v43
	;; [unrolled: 1-line block ×7, first 2 shown]
	ds_write2_b64 v0, v[1:2], v[3:4] offset1:1
	ds_write2_b64 v0, v[5:6], v[10:11] offset0:2 offset1:3
	ds_write2_b64 v0, v[15:16], v[19:20] offset0:4 offset1:5
	ds_write2_b64 v0, v[23:24], v[32:33] offset0:6 offset1:7
	ds_write2_b64 v0, v[21:22], v[17:18] offset0:8 offset1:9
	ds_write2_b64 v0, v[13:14], v[8:9] offset0:10 offset1:11
	ds_write_b64 v0, v[26:27] offset:96
	v_lshl_add_u32 v42, v36, 3, v25
	v_add_u32_e32 v2, 0x800, v41
	s_waitcnt lgkmcnt(0)
	; wave barrier
	s_waitcnt lgkmcnt(0)
	ds_read2_b64 v[8:11], v41 offset0:208 offset1:240
	v_lshl_add_u32 v0, v40, 3, v25
	v_lshl_add_u32 v1, v39, 3, v25
	ds_read2_b64 v[4:7], v2 offset0:16 offset1:48
	v_lshl_add_u32 v3, v38, 3, v25
	ds_read_b64 v[20:21], v42
	ds_read_b64 v[14:15], v0
	;; [unrolled: 1-line block ×4, first 2 shown]
	v_lshl_add_u32 v13, v35, 3, v25
	v_lshl_add_u32 v18, v37, 3, v25
	ds_read2_b64 v[0:3], v2 offset0:80 offset1:112
	ds_read_b64 v[24:25], v13
	ds_read_b64 v[18:19], v18
	v_cmp_gt_u32_e64 s[0:1], 16, v36
	v_lshlrev_b32_e32 v43, 3, v12
                                        ; implicit-def: $vgpr13
	s_and_saveexec_b64 s[2:3], s[0:1]
	s_cbranch_execz .LBB0_15
; %bb.14:
	v_lshlrev_b32_e32 v12, 3, v34
	v_add3_u32 v12, 0, v12, v43
	ds_read_b64 v[26:27], v12
	ds_read_b64 v[12:13], v41 offset:3200
.LBB0_15:
	s_or_b64 exec, exec, s[2:3]
	s_movk_i32 s2, 0x4f
	v_mul_lo_u16_sdwa v32, v36, s2 dst_sel:DWORD dst_unused:UNUSED_PAD src0_sel:BYTE_0 src1_sel:DWORD
	v_lshrrev_b16_e32 v44, 10, v32
	v_mul_lo_u16_e32 v32, 13, v44
	v_sub_u16_e32 v32, v36, v32
	v_mov_b32_e32 v45, 3
	v_lshlrev_b32_sdwa v46, v45, v32 dst_sel:DWORD dst_unused:UNUSED_PAD src0_sel:DWORD src1_sel:BYTE_0
	global_load_dwordx2 v[32:33], v46, s[12:13]
	s_movk_i32 s6, 0xd0
	s_waitcnt vmcnt(0) lgkmcnt(8)
	v_mul_f32_e32 v47, v33, v9
	v_fma_f32 v47, v32, v8, -v47
	v_mul_f32_e32 v33, v33, v8
	v_mul_lo_u16_sdwa v8, v40, s2 dst_sel:DWORD dst_unused:UNUSED_PAD src0_sel:BYTE_0 src1_sel:DWORD
	v_lshrrev_b16_e32 v48, 10, v8
	v_mul_lo_u16_e32 v8, 13, v48
	v_sub_u16_e32 v8, v40, v8
	v_lshlrev_b32_sdwa v40, v45, v8 dst_sel:DWORD dst_unused:UNUSED_PAD src0_sel:DWORD src1_sel:BYTE_0
	v_fmac_f32_e32 v33, v32, v9
	global_load_dwordx2 v[8:9], v40, s[12:13]
	s_waitcnt vmcnt(0)
	v_mul_f32_e32 v32, v9, v11
	v_fma_f32 v49, v8, v10, -v32
	v_mul_f32_e32 v10, v9, v10
	v_fmac_f32_e32 v10, v8, v11
	v_mul_lo_u16_sdwa v8, v39, s2 dst_sel:DWORD dst_unused:UNUSED_PAD src0_sel:BYTE_0 src1_sel:DWORD
	v_lshrrev_b16_e32 v50, 10, v8
	v_mul_lo_u16_e32 v8, 13, v50
	v_sub_u16_e32 v8, v39, v8
	v_lshlrev_b32_sdwa v39, v45, v8 dst_sel:DWORD dst_unused:UNUSED_PAD src0_sel:DWORD src1_sel:BYTE_0
	global_load_dwordx2 v[8:9], v39, s[12:13]
	s_waitcnt vmcnt(0) lgkmcnt(7)
	v_mul_f32_e32 v11, v9, v5
	v_fma_f32 v11, v8, v4, -v11
	v_mul_f32_e32 v9, v9, v4
	v_mul_lo_u16_sdwa v4, v38, s2 dst_sel:DWORD dst_unused:UNUSED_PAD src0_sel:BYTE_0 src1_sel:DWORD
	v_lshrrev_b16_e32 v51, 10, v4
	v_mul_lo_u16_e32 v4, 13, v51
	v_sub_u16_e32 v4, v38, v4
	v_lshlrev_b32_sdwa v38, v45, v4 dst_sel:DWORD dst_unused:UNUSED_PAD src0_sel:DWORD src1_sel:BYTE_0
	v_fmac_f32_e32 v9, v8, v5
	global_load_dwordx2 v[4:5], v38, s[12:13]
	s_waitcnt vmcnt(0)
	v_mul_f32_e32 v8, v5, v7
	v_fma_f32 v8, v4, v6, -v8
	v_mul_f32_e32 v6, v5, v6
	v_fmac_f32_e32 v6, v4, v7
	v_mul_lo_u16_sdwa v4, v35, s2 dst_sel:DWORD dst_unused:UNUSED_PAD src0_sel:BYTE_0 src1_sel:DWORD
	v_lshrrev_b16_e32 v52, 10, v4
	v_mul_lo_u16_e32 v4, 13, v52
	v_sub_u16_e32 v4, v35, v4
	v_lshlrev_b32_sdwa v53, v45, v4 dst_sel:DWORD dst_unused:UNUSED_PAD src0_sel:DWORD src1_sel:BYTE_0
	global_load_dwordx2 v[4:5], v53, s[12:13]
	s_waitcnt lgkmcnt(3)
	v_sub_f32_e32 v8, v16, v8
	s_waitcnt vmcnt(0) lgkmcnt(2)
	v_mul_f32_e32 v7, v5, v1
	v_fma_f32 v7, v4, v0, -v7
	v_mul_f32_e32 v5, v5, v0
	v_mul_lo_u16_sdwa v0, v37, s2 dst_sel:DWORD dst_unused:UNUSED_PAD src0_sel:BYTE_0 src1_sel:DWORD
	v_lshrrev_b16_e32 v54, 10, v0
	v_mul_lo_u16_e32 v0, 13, v54
	v_sub_u16_e32 v0, v37, v0
	v_lshlrev_b32_sdwa v37, v45, v0 dst_sel:DWORD dst_unused:UNUSED_PAD src0_sel:DWORD src1_sel:BYTE_0
	v_fmac_f32_e32 v5, v4, v1
	global_load_dwordx2 v[0:1], v37, s[12:13]
	s_waitcnt vmcnt(0)
	v_mul_f32_e32 v4, v1, v3
	v_mul_f32_e32 v55, v1, v2
	v_fma_f32 v4, v0, v2, -v4
	v_fmac_f32_e32 v55, v0, v3
	v_mul_lo_u16_sdwa v0, v34, s2 dst_sel:DWORD dst_unused:UNUSED_PAD src0_sel:BYTE_0 src1_sel:DWORD
	v_lshrrev_b16_e32 v35, 10, v0
	v_mul_lo_u16_e32 v0, 13, v35
	v_sub_u16_e32 v0, v34, v0
	v_lshlrev_b32_sdwa v34, v45, v0 dst_sel:DWORD dst_unused:UNUSED_PAD src0_sel:DWORD src1_sel:BYTE_0
	global_load_dwordx2 v[0:1], v34, s[12:13]
	s_waitcnt lgkmcnt(0)
	; wave barrier
	s_waitcnt lgkmcnt(0)
	v_sub_f32_e32 v4, v18, v4
	v_fma_f32 v18, v18, 2.0, -v4
	s_waitcnt vmcnt(0)
	v_mul_f32_e32 v2, v13, v1
	v_fma_f32 v45, v12, v0, -v2
	v_mul_f32_e32 v56, v12, v1
	v_sub_f32_e32 v12, v20, v47
	v_fma_f32 v32, v20, 2.0, -v12
	v_sub_f32_e32 v20, v22, v11
	v_fma_f32 v2, v22, 2.0, -v20
	v_fma_f32 v22, v16, 2.0, -v8
	v_sub_f32_e32 v16, v24, v7
	v_fmac_f32_e32 v56, v13, v0
	v_sub_f32_e32 v13, v21, v33
	v_sub_f32_e32 v1, v15, v10
	v_fma_f32 v10, v24, 2.0, -v16
	v_sub_f32_e32 v24, v26, v45
	v_fma_f32 v33, v21, 2.0, -v13
	v_sub_f32_e32 v21, v23, v9
	v_sub_f32_e32 v9, v17, v6
	v_fma_f32 v6, v26, 2.0, -v24
	v_mad_u32_u24 v26, v44, s6, 0
	v_add3_u32 v26, v26, v46, v43
	v_sub_f32_e32 v0, v14, v49
	ds_write2_b64 v26, v[32:33], v[12:13] offset1:13
	v_mad_u32_u24 v26, v48, s6, 0
	v_fma_f32 v14, v14, 2.0, -v0
	v_fma_f32 v15, v15, 2.0, -v1
	v_add3_u32 v26, v26, v40, v43
	ds_write2_b64 v26, v[14:15], v[0:1] offset1:13
	v_mad_u32_u24 v26, v50, s6, 0
	v_fma_f32 v3, v23, 2.0, -v21
	v_add3_u32 v26, v26, v39, v43
	ds_write2_b64 v26, v[2:3], v[20:21] offset1:13
	v_mad_u32_u24 v26, v51, s6, 0
	v_fma_f32 v23, v17, 2.0, -v9
	v_add3_u32 v26, v26, v38, v43
	v_sub_f32_e32 v17, v25, v5
	ds_write2_b64 v26, v[22:23], v[8:9] offset1:13
	v_mad_u32_u24 v26, v52, s6, 0
	v_fma_f32 v11, v25, 2.0, -v17
	v_add3_u32 v26, v26, v53, v43
	v_sub_f32_e32 v5, v19, v55
	v_sub_f32_e32 v25, v27, v56
	ds_write2_b64 v26, v[10:11], v[16:17] offset1:13
	v_mad_u32_u24 v26, v54, s6, 0
	v_fma_f32 v19, v19, 2.0, -v5
	v_fma_f32 v7, v27, 2.0, -v25
	v_add3_u32 v26, v26, v37, v43
	ds_write2_b64 v26, v[18:19], v[4:5] offset1:13
	s_and_saveexec_b64 s[2:3], s[0:1]
	s_cbranch_execz .LBB0_17
; %bb.16:
	v_mad_u32_u24 v26, v35, s6, 0
	v_add3_u32 v26, v26, v34, v43
	ds_write2_b64 v26, v[6:7], v[24:25] offset1:13
.LBB0_17:
	s_or_b64 exec, exec, s[2:3]
	v_cmp_gt_u32_e64 s[0:1], 26, v36
	s_waitcnt lgkmcnt(0)
	; wave barrier
	s_waitcnt lgkmcnt(0)
                                        ; implicit-def: $vgpr35
	s_and_saveexec_b64 s[2:3], s[0:1]
	s_cbranch_execz .LBB0_19
; %bb.18:
	v_add_u32_e32 v4, 0x400, v41
	v_add_u32_e32 v24, 0x800, v41
	ds_read2_b64 v[12:15], v41 offset0:26 offset1:52
	ds_read2_b64 v[0:3], v41 offset0:78 offset1:104
	ds_read2_b64 v[20:23], v41 offset0:130 offset1:156
	ds_read2_b64 v[8:11], v41 offset0:182 offset1:208
	ds_read2_b64 v[16:19], v4 offset0:106 offset1:132
	ds_read2_b64 v[4:7], v24 offset0:30 offset1:56
	ds_read2_b64 v[24:27], v24 offset0:82 offset1:108
	ds_read_b64 v[32:33], v42
	ds_read_b64 v[34:35], v41 offset:3120
.LBB0_19:
	s_or_b64 exec, exec, s[2:3]
	v_cmp_gt_u32_e64 s[2:3], 26, v36
	s_and_b64 s[2:3], vcc, s[2:3]
	s_and_saveexec_b64 s[6:7], s[2:3]
	s_cbranch_execz .LBB0_21
; %bb.20:
	v_subrev_u32_e32 v37, 26, v36
	v_cndmask_b32_e64 v37, v37, v36, s[0:1]
	v_mul_i32_i24_e32 v37, 15, v37
	v_mov_b32_e32 v38, 0
	v_lshlrev_b64 v[37:38], 3, v[37:38]
	v_mov_b32_e32 v39, s13
	v_add_co_u32_e32 v53, vcc, s12, v37
	v_addc_co_u32_e32 v54, vcc, v39, v38, vcc
	global_load_dwordx4 v[37:40], v[53:54], off offset:136
	global_load_dwordx4 v[41:44], v[53:54], off offset:200
	;; [unrolled: 1-line block ×4, first 2 shown]
	v_lshlrev_b64 v[28:29], 3, v[28:29]
	s_waitcnt vmcnt(3) lgkmcnt(6)
	v_mul_f32_e32 v55, v23, v39
	v_mul_f32_e32 v56, v21, v37
	;; [unrolled: 1-line block ×4, first 2 shown]
	v_fmac_f32_e32 v55, v22, v40
	v_fma_f32 v40, v20, v37, -v21
	s_waitcnt vmcnt(2) lgkmcnt(2)
	v_mul_f32_e32 v57, v27, v43
	v_mul_f32_e32 v58, v25, v41
	;; [unrolled: 1-line block ×3, first 2 shown]
	v_fmac_f32_e32 v56, v20, v38
	v_mul_f32_e32 v20, v27, v44
	v_fmac_f32_e32 v57, v26, v44
	v_fmac_f32_e32 v58, v24, v42
	v_fma_f32 v41, v24, v41, -v21
	s_waitcnt vmcnt(1)
	v_mul_f32_e32 v24, v15, v48
	v_mul_f32_e32 v42, v14, v48
	;; [unrolled: 1-line block ×4, first 2 shown]
	v_fma_f32 v39, v22, v39, -v23
	global_load_dwordx2 v[37:38], v[53:54], off offset:216
	v_fma_f32 v43, v26, v43, -v20
	global_load_dwordx4 v[20:23], v[53:54], off offset:120
	v_fma_f32 v46, v14, v47, -v24
	v_fmac_f32_e32 v42, v15, v47
	v_fma_f32 v47, v12, v45, -v25
	v_fmac_f32_e32 v44, v13, v45
	global_load_dwordx4 v[12:15], v[53:54], off offset:168
	global_load_dwordx4 v[24:27], v[53:54], off offset:184
	v_mul_lo_u32 v45, s5, v30
	v_mul_lo_u32 v48, s4, v31
	v_mad_u64_u32 v[30:31], s[0:1], s4, v30, 0
	v_add3_u32 v31, v31, v48, v45
	v_lshlrev_b64 v[30:31], 3, v[30:31]
	s_waitcnt vmcnt(2)
	v_mul_f32_e32 v48, v3, v23
	v_fma_f32 v48, v2, v22, -v48
	s_waitcnt vmcnt(1)
	v_mul_f32_e32 v53, v17, v13
	v_mul_f32_e32 v13, v16, v13
	v_fmac_f32_e32 v13, v17, v12
	v_mul_f32_e32 v17, v1, v21
	v_mul_f32_e32 v45, v19, v15
	;; [unrolled: 1-line block ×3, first 2 shown]
	v_fma_f32 v17, v0, v20, -v17
	v_mul_f32_e32 v21, v0, v21
	s_waitcnt vmcnt(0)
	v_mul_f32_e32 v0, v4, v25
	v_fma_f32 v18, v18, v14, -v45
	v_fmac_f32_e32 v15, v19, v14
	v_fma_f32 v14, v16, v12, -v53
	v_mul_f32_e32 v16, v11, v51
	v_mul_f32_e32 v19, v5, v25
	;; [unrolled: 1-line block ×3, first 2 shown]
	s_waitcnt lgkmcnt(0)
	v_mul_f32_e32 v53, v35, v37
	v_mul_f32_e32 v9, v9, v50
	;; [unrolled: 1-line block ×3, first 2 shown]
	v_fmac_f32_e32 v21, v1, v20
	v_fmac_f32_e32 v0, v5, v24
	;; [unrolled: 1-line block ×3, first 2 shown]
	v_fma_f32 v19, v4, v24, -v19
	v_fmac_f32_e32 v45, v8, v50
	v_fmac_f32_e32 v53, v34, v38
	v_fma_f32 v8, v8, v49, -v9
	v_fma_f32 v9, v10, v51, -v11
	v_sub_f32_e32 v10, v46, v18
	v_sub_f32_e32 v18, v39, v43
	;; [unrolled: 1-line block ×3, first 2 shown]
	v_mul_f32_e32 v35, v35, v38
	v_sub_f32_e32 v20, v21, v0
	v_sub_f32_e32 v4, v40, v41
	v_sub_f32_e32 v13, v44, v13
	v_mul_f32_e32 v5, v2, v23
	v_mul_f32_e32 v0, v6, v27
	;; [unrolled: 1-line block ×3, first 2 shown]
	v_sub_f32_e32 v43, v45, v53
	v_fma_f32 v34, v34, v37, -v35
	v_fmac_f32_e32 v5, v3, v22
	v_add_f32_e32 v22, v13, v4
	v_fmac_f32_e32 v0, v7, v26
	v_fma_f32 v7, v39, 2.0, -v18
	v_fma_f32 v39, v47, 2.0, -v14
	v_fma_f32 v4, v40, 2.0, -v4
	v_fma_f32 v12, v6, v26, -v12
	v_sub_f32_e32 v19, v17, v19
	v_sub_f32_e32 v34, v8, v34
	;; [unrolled: 1-line block ×3, first 2 shown]
	v_fma_f32 v21, v21, 2.0, -v20
	v_fma_f32 v4, v45, 2.0, -v43
	v_sub_f32_e32 v12, v48, v12
	v_sub_f32_e32 v16, v33, v16
	;; [unrolled: 1-line block ×4, first 2 shown]
	v_fma_f32 v17, v17, 2.0, -v19
	v_fma_f32 v4, v8, 2.0, -v34
	v_sub_f32_e32 v15, v42, v15
	v_add_f32_e32 v52, v12, v16
	v_add_f32_e32 v24, v20, v34
	v_sub_f32_e32 v25, v32, v9
	v_sub_f32_e32 v34, v17, v4
	v_fma_f32 v44, v44, 2.0, -v13
	v_fma_f32 v4, v56, 2.0, -v49
	v_sub_f32_e32 v11, v55, v57
	v_add_f32_e32 v51, v15, v18
	v_mov_b32_e32 v57, v52
	v_sub_f32_e32 v6, v5, v0
	v_sub_f32_e32 v45, v44, v4
	v_fma_f32 v32, v32, 2.0, -v25
	v_fma_f32 v4, v48, 2.0, -v12
	v_sub_f32_e32 v50, v10, v11
	v_sub_f32_e32 v54, v14, v49
	v_fmac_f32_e32 v57, 0x3f3504f3, v51
	v_mov_b32_e32 v23, v22
	v_fma_f32 v33, v33, 2.0, -v16
	v_fma_f32 v5, v5, 2.0, -v6
	v_sub_f32_e32 v47, v32, v4
	v_fma_f32 v12, v42, 2.0, -v15
	v_fma_f32 v4, v55, 2.0, -v11
	v_sub_f32_e32 v53, v19, v43
	v_mov_b32_e32 v58, v54
	v_fmac_f32_e32 v57, 0x3f3504f3, v50
	v_fmac_f32_e32 v23, 0x3f3504f3, v24
	v_sub_f32_e32 v26, v25, v6
	v_sub_f32_e32 v37, v33, v5
	;; [unrolled: 1-line block ×3, first 2 shown]
	v_fmac_f32_e32 v58, 0x3f3504f3, v53
	v_fmac_f32_e32 v23, 0x3f3504f3, v53
	v_mov_b32_e32 v27, v26
	v_fma_f32 v35, v46, 2.0, -v10
	v_fma_f32 v49, v16, 2.0, -v52
	;; [unrolled: 1-line block ×5, first 2 shown]
	v_fmac_f32_e32 v58, 0xbf3504f3, v24
	v_fmac_f32_e32 v27, 0x3f3504f3, v50
	v_sub_f32_e32 v18, v35, v7
	v_sub_f32_e32 v48, v47, v42
	v_fma_f32 v11, v20, 2.0, -v24
	v_sub_f32_e32 v42, v33, v12
	v_fma_f32 v39, v39, 2.0, -v40
	v_fma_f32 v12, v17, 2.0, -v34
	;; [unrolled: 1-line block ×3, first 2 shown]
	v_mov_b32_e32 v17, v16
	v_fmac_f32_e32 v27, 0xbf3504f3, v51
	v_add_f32_e32 v38, v18, v37
	v_add_f32_e32 v46, v34, v45
	v_sub_f32_e32 v60, v39, v12
	v_fma_f32 v34, v32, 2.0, -v47
	v_fma_f32 v12, v35, 2.0, -v18
	;; [unrolled: 1-line block ×3, first 2 shown]
	v_fmac_f32_e32 v17, 0xbec3ef15, v20
	v_sub_f32_e32 v61, v34, v12
	v_fma_f32 v12, v21, 2.0, -v41
	v_fmac_f32_e32 v17, 0x3f6c835e, v18
	v_fma_f32 v21, v26, 2.0, -v27
	v_fma_f32 v9, v19, 2.0, -v53
	;; [unrolled: 1-line block ×3, first 2 shown]
	v_mov_b32_e32 v16, v21
	v_fmac_f32_e32 v16, 0xbec3ef15, v18
	v_fmac_f32_e32 v16, 0xbf6c835e, v20
	v_fma_f32 v20, v37, 2.0, -v38
	v_sub_f32_e32 v43, v40, v41
	v_fma_f32 v56, v25, 2.0, -v26
	v_fma_f32 v18, v21, 2.0, -v16
	;; [unrolled: 1-line block ×3, first 2 shown]
	v_mov_b32_e32 v21, v20
	v_mov_b32_e32 v0, v27
	v_fma_f32 v24, v13, 2.0, -v22
	v_fma_f32 v22, v40, 2.0, -v43
	v_fmac_f32_e32 v21, 0xbf3504f3, v25
	v_mov_b32_e32 v1, v57
	v_fmac_f32_e32 v0, 0x3f6c835e, v58
	v_fmac_f32_e32 v21, 0x3f3504f3, v22
	v_fma_f32 v26, v47, 2.0, -v48
	v_fmac_f32_e32 v1, 0x3f6c835e, v23
	v_fmac_f32_e32 v0, 0xbec3ef15, v23
	v_fma_f32 v8, v10, 2.0, -v50
	v_fma_f32 v10, v15, 2.0, -v51
	v_mov_b32_e32 v50, v49
	v_fma_f32 v23, v20, 2.0, -v21
	v_mov_b32_e32 v20, v26
	v_mov_b32_e32 v5, v38
	v_fmac_f32_e32 v50, 0xbf3504f3, v10
	v_fma_f32 v51, v14, 2.0, -v54
	v_mov_b32_e32 v55, v24
	v_fmac_f32_e32 v20, 0xbf3504f3, v22
	v_fmac_f32_e32 v5, 0x3f3504f3, v46
	;; [unrolled: 1-line block ×3, first 2 shown]
	v_mov_b32_e32 v53, v51
	v_fmac_f32_e32 v55, 0xbf3504f3, v11
	v_fmac_f32_e32 v20, 0xbf3504f3, v25
	;; [unrolled: 1-line block ×5, first 2 shown]
	v_fma_f32 v22, v26, 2.0, -v20
	v_fma_f32 v26, v49, 2.0, -v50
	;; [unrolled: 1-line block ×3, first 2 shown]
	v_fmac_f32_e32 v53, 0xbf3504f3, v11
	v_mov_b32_e32 v59, v56
	v_fma_f32 v38, v24, 2.0, -v55
	v_mov_b32_e32 v25, v26
	v_fmac_f32_e32 v59, 0xbf3504f3, v8
	v_fma_f32 v37, v51, 2.0, -v53
	v_fmac_f32_e32 v25, 0xbf6c835e, v38
	v_fmac_f32_e32 v59, 0xbf3504f3, v10
	;; [unrolled: 1-line block ×3, first 2 shown]
	v_fma_f32 v2, v27, 2.0, -v0
	v_fma_f32 v32, v44, 2.0, -v45
	;; [unrolled: 1-line block ×4, first 2 shown]
	v_sub_f32_e32 v35, v32, v12
	v_mov_b32_e32 v24, v26
	v_sub_f32_e32 v12, v61, v35
	v_fmac_f32_e32 v24, 0xbf6c835e, v37
	v_fma_f32 v37, v33, 2.0, -v42
	v_fma_f32 v35, v32, 2.0, -v35
	v_mad_u64_u32 v[32:33], s[0:1], s20, v36, 0
	v_sub_f32_e32 v35, v37, v35
	v_fmac_f32_e32 v24, 0xbec3ef15, v38
	v_fma_f32 v38, v37, 2.0, -v35
	v_fma_f32 v37, v34, 2.0, -v61
	v_mad_u64_u32 v[33:34], s[0:1], s21, v36, v[33:34]
	v_fma_f32 v34, v39, 2.0, -v60
	v_mov_b32_e32 v39, s11
	v_add_co_u32_e32 v40, vcc, s10, v30
	v_add_u32_e32 v41, 26, v36
	v_addc_co_u32_e32 v39, vcc, v39, v31, vcc
	v_mad_u64_u32 v[30:31], s[0:1], s20, v41, 0
	v_add_co_u32_e32 v40, vcc, v40, v28
	v_addc_co_u32_e32 v39, vcc, v39, v29, vcc
	v_lshlrev_b64 v[28:29], 3, v[32:33]
	v_mad_u64_u32 v[31:32], s[0:1], s21, v41, v[31:32]
	v_sub_f32_e32 v34, v37, v34
	v_add_co_u32_e32 v28, vcc, v40, v28
	v_fma_f32 v37, v37, 2.0, -v34
	v_addc_co_u32_e32 v29, vcc, v39, v29, vcc
	v_add_u32_e32 v32, 52, v36
	global_store_dwordx2 v[28:29], v[37:38], off
	v_lshlrev_b64 v[28:29], 3, v[30:31]
	v_mad_u64_u32 v[30:31], s[0:1], s20, v32, 0
	v_add_u32_e32 v37, 0x4e, v36
	v_add_co_u32_e32 v28, vcc, v40, v28
	v_mad_u64_u32 v[31:32], s[0:1], s21, v32, v[31:32]
	v_mad_u64_u32 v[32:33], s[0:1], s20, v37, 0
	v_fma_f32 v26, v26, 2.0, -v24
	v_addc_co_u32_e32 v29, vcc, v39, v29, vcc
	global_store_dwordx2 v[28:29], v[26:27], off
	v_mov_b32_e32 v28, v33
	v_mad_u64_u32 v[28:29], s[0:1], s21, v37, v[28:29]
	v_lshlrev_b64 v[26:27], 3, v[30:31]
	v_add_u32_e32 v30, 0x82, v36
	v_add_co_u32_e32 v26, vcc, v40, v26
	v_addc_co_u32_e32 v27, vcc, v39, v27, vcc
	v_mov_b32_e32 v33, v28
	v_add_u32_e32 v28, 0x68, v36
	global_store_dwordx2 v[26:27], v[22:23], off
	v_mad_u64_u32 v[26:27], s[0:1], s20, v28, 0
	v_lshlrev_b64 v[22:23], 3, v[32:33]
	v_add_f32_e32 v13, v42, v60
	v_mad_u64_u32 v[27:28], s[0:1], s21, v28, v[27:28]
	v_mad_u64_u32 v[28:29], s[0:1], s20, v30, 0
	v_add_co_u32_e32 v22, vcc, v40, v22
	v_addc_co_u32_e32 v23, vcc, v39, v23, vcc
	global_store_dwordx2 v[22:23], v[18:19], off
	v_mov_b32_e32 v22, v29
	v_mad_u64_u32 v[22:23], s[0:1], s21, v30, v[22:23]
	v_lshlrev_b64 v[18:19], 3, v[26:27]
	v_fma_f32 v15, v42, 2.0, -v13
	v_add_co_u32_e32 v18, vcc, v40, v18
	v_fma_f32 v14, v61, 2.0, -v12
	v_addc_co_u32_e32 v19, vcc, v39, v19, vcc
	v_mov_b32_e32 v29, v22
	v_add_u32_e32 v22, 0x9c, v36
	global_store_dwordx2 v[18:19], v[14:15], off
	v_mad_u64_u32 v[18:19], s[0:1], s20, v22, 0
	v_mov_b32_e32 v9, v50
	v_mov_b32_e32 v8, v59
	v_mad_u64_u32 v[22:23], s[0:1], s21, v22, v[19:20]
	v_add_u32_e32 v23, 0xb6, v36
	v_lshlrev_b64 v[14:15], 3, v[28:29]
	v_mad_u64_u32 v[26:27], s[0:1], s20, v23, 0
	v_fmac_f32_e32 v9, 0x3ec3ef15, v55
	v_fmac_f32_e32 v8, 0x3ec3ef15, v53
	;; [unrolled: 1-line block ×4, first 2 shown]
	v_add_co_u32_e32 v14, vcc, v40, v14
	v_fma_f32 v11, v50, 2.0, -v9
	v_fma_f32 v10, v59, 2.0, -v8
	v_addc_co_u32_e32 v15, vcc, v39, v15, vcc
	global_store_dwordx2 v[14:15], v[10:11], off
	v_mov_b32_e32 v14, v27
	v_mov_b32_e32 v19, v22
	v_mad_u64_u32 v[14:15], s[0:1], s21, v23, v[14:15]
	v_mov_b32_e32 v4, v48
	v_lshlrev_b64 v[10:11], 3, v[18:19]
	v_fmac_f32_e32 v4, 0x3f3504f3, v43
	v_fmac_f32_e32 v4, 0xbf3504f3, v46
	v_add_co_u32_e32 v10, vcc, v40, v10
	v_fma_f32 v6, v48, 2.0, -v4
	v_addc_co_u32_e32 v11, vcc, v39, v11, vcc
	v_mov_b32_e32 v27, v14
	v_add_u32_e32 v14, 0xd0, v36
	global_store_dwordx2 v[10:11], v[6:7], off
	v_mad_u64_u32 v[10:11], s[0:1], s20, v14, 0
	v_lshlrev_b64 v[6:7], 3, v[26:27]
	v_fmac_f32_e32 v1, 0x3ec3ef15, v58
	v_mad_u64_u32 v[14:15], s[0:1], s21, v14, v[11:12]
	v_add_u32_e32 v15, 0xea, v36
	v_mad_u64_u32 v[18:19], s[0:1], s20, v15, 0
	v_add_co_u32_e32 v6, vcc, v40, v6
	v_fma_f32 v3, v57, 2.0, -v1
	v_addc_co_u32_e32 v7, vcc, v39, v7, vcc
	global_store_dwordx2 v[6:7], v[2:3], off
	v_mov_b32_e32 v6, v19
	v_mad_u64_u32 v[6:7], s[0:1], s21, v15, v[6:7]
	v_mov_b32_e32 v11, v14
	v_lshlrev_b64 v[2:3], 3, v[10:11]
	v_add_u32_e32 v10, 0x104, v36
	v_mov_b32_e32 v19, v6
	v_mad_u64_u32 v[6:7], s[0:1], s20, v10, 0
	v_add_co_u32_e32 v2, vcc, v40, v2
	v_mad_u64_u32 v[10:11], s[0:1], s21, v10, v[7:8]
	v_addc_co_u32_e32 v3, vcc, v39, v3, vcc
	v_add_u32_e32 v11, 0x11e, v36
	global_store_dwordx2 v[2:3], v[34:35], off
	v_lshlrev_b64 v[2:3], 3, v[18:19]
	v_mad_u64_u32 v[14:15], s[0:1], s20, v11, 0
	v_add_co_u32_e32 v2, vcc, v40, v2
	v_addc_co_u32_e32 v3, vcc, v39, v3, vcc
	v_mov_b32_e32 v7, v10
	global_store_dwordx2 v[2:3], v[24:25], off
	v_lshlrev_b64 v[2:3], 3, v[6:7]
	v_mov_b32_e32 v6, v15
	v_mad_u64_u32 v[6:7], s[0:1], s21, v11, v[6:7]
	v_add_u32_e32 v10, 0x138, v36
	v_add_co_u32_e32 v2, vcc, v40, v2
	v_mov_b32_e32 v15, v6
	v_mad_u64_u32 v[6:7], s[0:1], s20, v10, 0
	v_addc_co_u32_e32 v3, vcc, v39, v3, vcc
	v_mad_u64_u32 v[10:11], s[0:1], s21, v10, v[7:8]
	v_add_u32_e32 v11, 0x152, v36
	global_store_dwordx2 v[2:3], v[20:21], off
	v_lshlrev_b64 v[2:3], 3, v[14:15]
	v_mad_u64_u32 v[14:15], s[0:1], s20, v11, 0
	v_add_co_u32_e32 v2, vcc, v40, v2
	v_addc_co_u32_e32 v3, vcc, v39, v3, vcc
	v_mov_b32_e32 v7, v10
	global_store_dwordx2 v[2:3], v[16:17], off
	v_lshlrev_b64 v[2:3], 3, v[6:7]
	v_mov_b32_e32 v6, v15
	v_mad_u64_u32 v[6:7], s[0:1], s21, v11, v[6:7]
	v_add_u32_e32 v10, 0x16c, v36
	v_add_co_u32_e32 v2, vcc, v40, v2
	v_mov_b32_e32 v15, v6
	v_mad_u64_u32 v[6:7], s[0:1], s20, v10, 0
	v_addc_co_u32_e32 v3, vcc, v39, v3, vcc
	global_store_dwordx2 v[2:3], v[12:13], off
	v_mad_u64_u32 v[10:11], s[0:1], s21, v10, v[7:8]
	v_add_u32_e32 v13, 0x186, v36
	v_lshlrev_b64 v[2:3], 3, v[14:15]
	v_mad_u64_u32 v[11:12], s[0:1], s20, v13, 0
	v_add_co_u32_e32 v2, vcc, v40, v2
	v_addc_co_u32_e32 v3, vcc, v39, v3, vcc
	v_mov_b32_e32 v7, v10
	global_store_dwordx2 v[2:3], v[8:9], off
	v_lshlrev_b64 v[2:3], 3, v[6:7]
	v_mov_b32_e32 v6, v12
	v_mad_u64_u32 v[6:7], s[0:1], s21, v13, v[6:7]
	v_add_co_u32_e32 v2, vcc, v40, v2
	v_addc_co_u32_e32 v3, vcc, v39, v3, vcc
	v_mov_b32_e32 v12, v6
	global_store_dwordx2 v[2:3], v[4:5], off
	v_lshlrev_b64 v[2:3], 3, v[11:12]
	v_add_co_u32_e32 v2, vcc, v40, v2
	v_addc_co_u32_e32 v3, vcc, v39, v3, vcc
	global_store_dwordx2 v[2:3], v[0:1], off
.LBB0_21:
	s_endpgm
	.section	.rodata,"a",@progbits
	.p2align	6, 0x0
	.amdhsa_kernel fft_rtc_fwd_len416_factors_13_2_16_wgs_64_tpt_32_sp_op_CI_CI_sbrr_dirReg
		.amdhsa_group_segment_fixed_size 0
		.amdhsa_private_segment_fixed_size 0
		.amdhsa_kernarg_size 104
		.amdhsa_user_sgpr_count 6
		.amdhsa_user_sgpr_private_segment_buffer 1
		.amdhsa_user_sgpr_dispatch_ptr 0
		.amdhsa_user_sgpr_queue_ptr 0
		.amdhsa_user_sgpr_kernarg_segment_ptr 1
		.amdhsa_user_sgpr_dispatch_id 0
		.amdhsa_user_sgpr_flat_scratch_init 0
		.amdhsa_user_sgpr_private_segment_size 0
		.amdhsa_uses_dynamic_stack 0
		.amdhsa_system_sgpr_private_segment_wavefront_offset 0
		.amdhsa_system_sgpr_workgroup_id_x 1
		.amdhsa_system_sgpr_workgroup_id_y 0
		.amdhsa_system_sgpr_workgroup_id_z 0
		.amdhsa_system_sgpr_workgroup_info 0
		.amdhsa_system_vgpr_workitem_id 0
		.amdhsa_next_free_vgpr 65
		.amdhsa_next_free_sgpr 32
		.amdhsa_reserve_vcc 1
		.amdhsa_reserve_flat_scratch 0
		.amdhsa_float_round_mode_32 0
		.amdhsa_float_round_mode_16_64 0
		.amdhsa_float_denorm_mode_32 3
		.amdhsa_float_denorm_mode_16_64 3
		.amdhsa_dx10_clamp 1
		.amdhsa_ieee_mode 1
		.amdhsa_fp16_overflow 0
		.amdhsa_exception_fp_ieee_invalid_op 0
		.amdhsa_exception_fp_denorm_src 0
		.amdhsa_exception_fp_ieee_div_zero 0
		.amdhsa_exception_fp_ieee_overflow 0
		.amdhsa_exception_fp_ieee_underflow 0
		.amdhsa_exception_fp_ieee_inexact 0
		.amdhsa_exception_int_div_zero 0
	.end_amdhsa_kernel
	.text
.Lfunc_end0:
	.size	fft_rtc_fwd_len416_factors_13_2_16_wgs_64_tpt_32_sp_op_CI_CI_sbrr_dirReg, .Lfunc_end0-fft_rtc_fwd_len416_factors_13_2_16_wgs_64_tpt_32_sp_op_CI_CI_sbrr_dirReg
                                        ; -- End function
	.section	.AMDGPU.csdata,"",@progbits
; Kernel info:
; codeLenInByte = 8652
; NumSgprs: 36
; NumVgprs: 65
; ScratchSize: 0
; MemoryBound: 0
; FloatMode: 240
; IeeeMode: 1
; LDSByteSize: 0 bytes/workgroup (compile time only)
; SGPRBlocks: 4
; VGPRBlocks: 16
; NumSGPRsForWavesPerEU: 36
; NumVGPRsForWavesPerEU: 65
; Occupancy: 3
; WaveLimiterHint : 1
; COMPUTE_PGM_RSRC2:SCRATCH_EN: 0
; COMPUTE_PGM_RSRC2:USER_SGPR: 6
; COMPUTE_PGM_RSRC2:TRAP_HANDLER: 0
; COMPUTE_PGM_RSRC2:TGID_X_EN: 1
; COMPUTE_PGM_RSRC2:TGID_Y_EN: 0
; COMPUTE_PGM_RSRC2:TGID_Z_EN: 0
; COMPUTE_PGM_RSRC2:TIDIG_COMP_CNT: 0
	.type	__hip_cuid_da8292def99d808e,@object ; @__hip_cuid_da8292def99d808e
	.section	.bss,"aw",@nobits
	.globl	__hip_cuid_da8292def99d808e
__hip_cuid_da8292def99d808e:
	.byte	0                               ; 0x0
	.size	__hip_cuid_da8292def99d808e, 1

	.ident	"AMD clang version 19.0.0git (https://github.com/RadeonOpenCompute/llvm-project roc-6.4.0 25133 c7fe45cf4b819c5991fe208aaa96edf142730f1d)"
	.section	".note.GNU-stack","",@progbits
	.addrsig
	.addrsig_sym __hip_cuid_da8292def99d808e
	.amdgpu_metadata
---
amdhsa.kernels:
  - .args:
      - .actual_access:  read_only
        .address_space:  global
        .offset:         0
        .size:           8
        .value_kind:     global_buffer
      - .offset:         8
        .size:           8
        .value_kind:     by_value
      - .actual_access:  read_only
        .address_space:  global
        .offset:         16
        .size:           8
        .value_kind:     global_buffer
      - .actual_access:  read_only
        .address_space:  global
        .offset:         24
        .size:           8
        .value_kind:     global_buffer
      - .actual_access:  read_only
        .address_space:  global
        .offset:         32
        .size:           8
        .value_kind:     global_buffer
      - .offset:         40
        .size:           8
        .value_kind:     by_value
      - .actual_access:  read_only
        .address_space:  global
        .offset:         48
        .size:           8
        .value_kind:     global_buffer
      - .actual_access:  read_only
        .address_space:  global
        .offset:         56
        .size:           8
        .value_kind:     global_buffer
      - .offset:         64
        .size:           4
        .value_kind:     by_value
      - .actual_access:  read_only
        .address_space:  global
        .offset:         72
        .size:           8
        .value_kind:     global_buffer
      - .actual_access:  read_only
        .address_space:  global
        .offset:         80
        .size:           8
        .value_kind:     global_buffer
      - .actual_access:  read_only
        .address_space:  global
        .offset:         88
        .size:           8
        .value_kind:     global_buffer
      - .actual_access:  write_only
        .address_space:  global
        .offset:         96
        .size:           8
        .value_kind:     global_buffer
    .group_segment_fixed_size: 0
    .kernarg_segment_align: 8
    .kernarg_segment_size: 104
    .language:       OpenCL C
    .language_version:
      - 2
      - 0
    .max_flat_workgroup_size: 64
    .name:           fft_rtc_fwd_len416_factors_13_2_16_wgs_64_tpt_32_sp_op_CI_CI_sbrr_dirReg
    .private_segment_fixed_size: 0
    .sgpr_count:     36
    .sgpr_spill_count: 0
    .symbol:         fft_rtc_fwd_len416_factors_13_2_16_wgs_64_tpt_32_sp_op_CI_CI_sbrr_dirReg.kd
    .uniform_work_group_size: 1
    .uses_dynamic_stack: false
    .vgpr_count:     65
    .vgpr_spill_count: 0
    .wavefront_size: 64
amdhsa.target:   amdgcn-amd-amdhsa--gfx906
amdhsa.version:
  - 1
  - 2
...

	.end_amdgpu_metadata
